;; amdgpu-corpus repo=ROCm/rocFFT kind=compiled arch=gfx950 opt=O3
	.text
	.amdgcn_target "amdgcn-amd-amdhsa--gfx950"
	.amdhsa_code_object_version 6
	.protected	fft_rtc_back_len108_factors_9_2_6_wgs_252_tpt_12_dim3_sp_ip_CI_sbcc_twdbase8_2step_dirReg_intrinsicReadWrite ; -- Begin function fft_rtc_back_len108_factors_9_2_6_wgs_252_tpt_12_dim3_sp_ip_CI_sbcc_twdbase8_2step_dirReg_intrinsicReadWrite
	.globl	fft_rtc_back_len108_factors_9_2_6_wgs_252_tpt_12_dim3_sp_ip_CI_sbcc_twdbase8_2step_dirReg_intrinsicReadWrite
	.p2align	8
	.type	fft_rtc_back_len108_factors_9_2_6_wgs_252_tpt_12_dim3_sp_ip_CI_sbcc_twdbase8_2step_dirReg_intrinsicReadWrite,@function
fft_rtc_back_len108_factors_9_2_6_wgs_252_tpt_12_dim3_sp_ip_CI_sbcc_twdbase8_2step_dirReg_intrinsicReadWrite: ; @fft_rtc_back_len108_factors_9_2_6_wgs_252_tpt_12_dim3_sp_ip_CI_sbcc_twdbase8_2step_dirReg_intrinsicReadWrite
; %bb.0:
	s_load_dwordx4 s[4:7], s[0:1], 0x10
	s_mov_b32 s3, 0
	s_waitcnt lgkmcnt(0)
	s_load_dwordx2 s[12:13], s[4:5], 0x8
	s_waitcnt lgkmcnt(0)
	s_add_u32 s8, s12, -1
	s_addc_u32 s9, s13, -1
	s_add_u32 s10, 0, 0x30c26c00
	s_addc_u32 s11, 0, 44
	s_mul_hi_u32 s15, s10, 0xffffffeb
	s_add_i32 s11, s11, 0xc30c2e0
	s_sub_i32 s15, s15, s10
	s_mul_i32 s18, s11, 0xffffffeb
	s_mul_i32 s14, s10, 0xffffffeb
	s_add_i32 s15, s15, s18
	s_mul_hi_u32 s16, s11, s14
	s_mul_i32 s17, s11, s14
	s_mul_i32 s19, s10, s15
	s_mul_hi_u32 s14, s10, s14
	s_mul_hi_u32 s18, s10, s15
	s_add_u32 s14, s14, s19
	s_addc_u32 s18, 0, s18
	s_add_u32 s14, s14, s17
	s_mul_hi_u32 s19, s11, s15
	s_addc_u32 s14, s18, s16
	s_addc_u32 s16, s19, 0
	s_mul_i32 s15, s11, s15
	s_add_u32 s14, s14, s15
	v_mov_b32_e32 v1, s14
	s_addc_u32 s15, 0, s16
	v_add_co_u32_e32 v1, vcc, s10, v1
	s_cmp_lg_u64 vcc, 0
	s_addc_u32 s10, s11, s15
	v_readfirstlane_b32 s15, v1
	s_mul_i32 s14, s8, s10
	s_mul_hi_u32 s16, s8, s15
	s_mul_hi_u32 s11, s8, s10
	s_add_u32 s14, s16, s14
	s_addc_u32 s11, 0, s11
	s_mul_hi_u32 s17, s9, s15
	s_mul_i32 s15, s9, s15
	s_add_u32 s14, s14, s15
	s_mul_hi_u32 s16, s9, s10
	s_addc_u32 s11, s11, s17
	s_addc_u32 s14, s16, 0
	s_mul_i32 s10, s9, s10
	s_add_u32 s10, s11, s10
	s_addc_u32 s11, 0, s14
	s_add_u32 s14, s10, 1
	s_addc_u32 s15, s11, 0
	s_add_u32 s16, s10, 2
	s_mul_i32 s18, s11, 21
	s_mul_hi_u32 s19, s10, 21
	s_addc_u32 s17, s11, 0
	s_add_i32 s19, s19, s18
	s_mul_i32 s18, s10, 21
	v_mov_b32_e32 v1, s18
	v_sub_co_u32_e32 v1, vcc, s8, v1
	s_cmp_lg_u64 vcc, 0
	s_subb_u32 s8, s9, s19
	v_subrev_co_u32_e32 v2, vcc, 21, v1
	s_cmp_lg_u64 vcc, 0
	s_subb_u32 s9, s8, 0
	v_readfirstlane_b32 s18, v2
	s_cmp_gt_u32 s18, 20
	s_cselect_b32 s18, -1, 0
	s_cmp_eq_u32 s9, 0
	s_cselect_b32 s9, s18, -1
	s_cmp_lg_u32 s9, 0
	s_cselect_b32 s9, s16, s14
	s_cselect_b32 s14, s17, s15
	v_readfirstlane_b32 s15, v1
	s_cmp_gt_u32 s15, 20
	s_cselect_b32 s15, -1, 0
	s_cmp_eq_u32 s8, 0
	s_cselect_b32 s8, s15, -1
	s_cmp_lg_u32 s8, 0
	s_cselect_b32 s9, s9, s10
	s_cselect_b32 s8, s14, s11
	s_add_u32 s14, s9, 1
	s_addc_u32 s15, s8, 0
	v_mov_b64_e32 v[2:3], s[14:15]
	v_cmp_lt_u64_e32 vcc, s[2:3], v[2:3]
	s_mov_b64 s[18:19], 0
	s_cbranch_vccnz .LBB0_2
; %bb.1:
	v_cvt_f32_u32_e32 v1, s14
	s_sub_i32 s8, 0, s14
	s_mov_b32 s19, s3
	v_rcp_iflag_f32_e32 v1, v1
	s_nop 0
	v_mul_f32_e32 v1, 0x4f7ffffe, v1
	v_cvt_u32_f32_e32 v1, v1
	s_nop 0
	v_readfirstlane_b32 s9, v1
	s_mul_i32 s8, s8, s9
	s_mul_hi_u32 s8, s9, s8
	s_add_i32 s9, s9, s8
	s_mul_hi_u32 s8, s2, s9
	s_mul_i32 s10, s8, s14
	s_sub_i32 s10, s2, s10
	s_add_i32 s9, s8, 1
	s_sub_i32 s11, s10, s14
	s_cmp_ge_u32 s10, s14
	s_cselect_b32 s8, s9, s8
	s_cselect_b32 s10, s11, s10
	s_add_i32 s9, s8, 1
	s_cmp_ge_u32 s10, s14
	s_cselect_b32 s18, s9, s8
.LBB0_2:
	s_load_dwordx2 s[10:11], s[4:5], 0x10
	s_load_dwordx2 s[16:17], s[6:7], 0x8
	s_mov_b64 s[4:5], s[18:19]
	s_waitcnt lgkmcnt(0)
	v_mov_b64_e32 v[2:3], s[10:11]
	v_cmp_lt_u64_e32 vcc, s[18:19], v[2:3]
	s_cbranch_vccnz .LBB0_4
; %bb.3:
	v_cvt_f32_u32_e32 v1, s10
	s_sub_i32 s4, 0, s10
	v_rcp_iflag_f32_e32 v1, v1
	s_nop 0
	v_mul_f32_e32 v1, 0x4f7ffffe, v1
	v_cvt_u32_f32_e32 v1, v1
	s_nop 0
	v_readfirstlane_b32 s5, v1
	s_mul_i32 s4, s4, s5
	s_mul_hi_u32 s4, s5, s4
	s_add_i32 s5, s5, s4
	s_mul_hi_u32 s4, s18, s5
	s_mul_i32 s4, s4, s10
	s_sub_i32 s4, s18, s4
	s_sub_i32 s5, s4, s10
	s_cmp_ge_u32 s4, s10
	s_cselect_b32 s4, s5, s4
	s_sub_i32 s5, s4, s10
	s_cmp_ge_u32 s4, s10
	s_cselect_b32 s4, s5, s4
.LBB0_4:
	s_mul_i32 s5, s10, s15
	s_mul_hi_u32 s17, s10, s14
	s_add_i32 s5, s17, s5
	s_mul_i32 s11, s11, s14
	s_load_dwordx2 s[8:9], s[0:1], 0x50
	s_add_i32 s23, s5, s11
	s_mul_i32 s22, s10, s14
	s_load_dwordx2 s[10:11], s[6:7], 0x0
	s_load_dwordx2 s[20:21], s[6:7], 0x10
	v_mov_b64_e32 v[2:3], s[22:23]
	v_cmp_lt_u64_e32 vcc, s[2:3], v[2:3]
	s_mov_b64 s[24:25], 0
	s_cbranch_vccnz .LBB0_6
; %bb.5:
	v_cvt_f32_u32_e32 v1, s22
	s_sub_i32 s3, 0, s22
	v_rcp_iflag_f32_e32 v1, v1
	s_nop 0
	v_mul_f32_e32 v1, 0x4f7ffffe, v1
	v_cvt_u32_f32_e32 v1, v1
	s_nop 0
	v_readfirstlane_b32 s5, v1
	s_mul_i32 s3, s3, s5
	s_mul_hi_u32 s3, s5, s3
	s_add_i32 s5, s5, s3
	s_mul_hi_u32 s3, s2, s5
	s_waitcnt lgkmcnt(0)
	s_mul_i32 s11, s3, s22
	s_sub_i32 s11, s2, s11
	s_add_i32 s5, s3, 1
	s_sub_i32 s17, s11, s22
	s_cmp_ge_u32 s11, s22
	s_cselect_b32 s3, s5, s3
	s_cselect_b32 s11, s17, s11
	s_add_i32 s5, s3, 1
	s_cmp_ge_u32 s11, s22
	s_cselect_b32 s24, s5, s3
.LBB0_6:
	s_mul_i32 s3, s18, s15
	s_mul_hi_u32 s5, s18, s14
	s_add_i32 s5, s5, s3
	s_mul_i32 s3, s18, s14
	s_sub_u32 s14, s2, s3
	s_subb_u32 s2, 0, s5
	s_mul_i32 s5, s2, 21
	s_mul_hi_u32 s2, s14, 21
	s_add_i32 s15, s2, s5
	s_load_dwordx2 s[2:3], s[6:7], 0x18
	v_mul_u32_u24_e32 v1, 0xc31, v0
	s_mul_i32 s6, s14, 21
	v_lshrrev_b32_e32 v64, 16, v1
	s_waitcnt lgkmcnt(0)
	s_mul_i32 s3, s16, s6
	s_mul_i32 s4, s20, s4
	v_mul_lo_u16_e32 v1, 21, v64
	s_add_u32 s3, s4, s3
	s_mul_i32 s2, s2, s24
	v_sub_u16_e32 v18, v0, v1
	v_mov_b32_e32 v19, 0
	s_add_u32 s11, s2, s3
	v_mad_u64_u32 v[14:15], s[2:3], s14, 21, v[18:19]
	s_add_u32 s2, s6, 21
	s_addc_u32 s3, s15, 0
	v_mov_b64_e32 v[2:3], s[12:13]
	v_add_u32_e32 v15, s5, v15
	v_cmp_le_u64_e32 vcc, s[2:3], v[2:3]
	v_mad_u64_u32 v[16:17], s[2:3], s16, v18, 0
	v_cmp_gt_u64_e64 s[2:3], s[12:13], v[14:15]
	s_or_b64 s[6:7], vcc, s[2:3]
	v_mov_b32_e32 v2, 0
	v_mov_b32_e32 v3, 0
	s_and_saveexec_b64 s[4:5], s[6:7]
	s_cbranch_execz .LBB0_8
; %bb.7:
	v_mul_lo_u32 v1, s10, v64
	v_add3_u32 v2, s11, v16, v1
	v_mov_b32_e32 v3, v19
	v_lshl_add_u64 v[2:3], v[2:3], 3, s[8:9]
	global_load_dwordx2 v[2:3], v[2:3], off
.LBB0_8:
	s_or_b64 exec, exec, s[4:5]
	v_add_u32_e32 v1, 12, v64
	v_mov_b32_e32 v5, 0
	s_and_saveexec_b64 s[4:5], s[6:7]
	s_cbranch_execz .LBB0_10
; %bb.9:
	v_mul_lo_u32 v4, s10, v1
	v_add3_u32 v4, s11, v16, v4
	v_mov_b32_e32 v5, 0
	v_lshl_add_u64 v[4:5], v[4:5], 3, s[8:9]
	global_load_dwordx2 v[4:5], v[4:5], off
	s_waitcnt vmcnt(0)
	v_mov_b32_e32 v19, v4
.LBB0_10:
	s_or_b64 exec, exec, s[4:5]
	v_add_u32_e32 v15, 24, v64
	v_mov_b32_e32 v6, 0
	v_mov_b32_e32 v8, 0
	;; [unrolled: 1-line block ×3, first 2 shown]
	s_and_saveexec_b64 s[4:5], s[6:7]
	s_cbranch_execz .LBB0_12
; %bb.11:
	v_mul_lo_u32 v4, s10, v15
	v_add3_u32 v8, s11, v16, v4
	v_mov_b32_e32 v9, 0
	v_lshl_add_u64 v[8:9], v[8:9], 3, s[8:9]
	global_load_dwordx2 v[8:9], v[8:9], off
.LBB0_12:
	s_or_b64 exec, exec, s[4:5]
	v_add_u32_e32 v17, 36, v64
	v_mov_b32_e32 v7, 0
	s_and_saveexec_b64 s[4:5], s[6:7]
	s_cbranch_execz .LBB0_14
; %bb.13:
	v_mul_lo_u32 v4, s10, v17
	v_add3_u32 v6, s11, v16, v4
	v_mov_b32_e32 v7, 0
	v_lshl_add_u64 v[6:7], v[6:7], 3, s[8:9]
	global_load_dwordx2 v[6:7], v[6:7], off
.LBB0_14:
	s_or_b64 exec, exec, s[4:5]
	v_or_b32_e32 v29, 48, v64
	v_mov_b32_e32 v10, 0
	v_mov_b32_e32 v12, 0
	;; [unrolled: 1-line block ×3, first 2 shown]
	s_and_saveexec_b64 s[4:5], s[6:7]
	s_cbranch_execz .LBB0_16
; %bb.15:
	v_mul_lo_u32 v4, s10, v29
	v_add3_u32 v12, s11, v16, v4
	v_mov_b32_e32 v13, 0
	v_lshl_add_u64 v[12:13], v[12:13], 3, s[8:9]
	global_load_dwordx2 v[12:13], v[12:13], off
.LBB0_16:
	s_or_b64 exec, exec, s[4:5]
	v_mov_b32_e32 v11, 0
	s_and_saveexec_b64 s[4:5], s[6:7]
	s_cbranch_execz .LBB0_18
; %bb.17:
	v_add_u32_e32 v4, 60, v64
	v_mul_lo_u32 v4, s10, v4
	v_add3_u32 v10, s11, v16, v4
	v_mov_b32_e32 v11, 0
	v_lshl_add_u64 v[10:11], v[10:11], 3, s[8:9]
	global_load_dwordx2 v[10:11], v[10:11], off
.LBB0_18:
	s_or_b64 exec, exec, s[4:5]
	v_mov_b32_e32 v22, 0
	v_mov_b32_e32 v20, 0
	;; [unrolled: 1-line block ×3, first 2 shown]
	s_and_saveexec_b64 s[4:5], s[6:7]
	s_cbranch_execz .LBB0_20
; %bb.19:
	v_add_u32_e32 v4, 0x48, v64
	v_mul_lo_u32 v4, s10, v4
	v_add3_u32 v20, s11, v16, v4
	v_mov_b32_e32 v21, 0
	v_lshl_add_u64 v[20:21], v[20:21], 3, s[8:9]
	global_load_dwordx2 v[20:21], v[20:21], off
.LBB0_20:
	s_or_b64 exec, exec, s[4:5]
	v_mov_b32_e32 v23, 0
	s_and_saveexec_b64 s[4:5], s[6:7]
	s_cbranch_execz .LBB0_22
; %bb.21:
	v_add_u32_e32 v4, 0x54, v64
	v_mul_lo_u32 v4, s10, v4
	v_add3_u32 v22, s11, v16, v4
	v_mov_b32_e32 v23, 0
	v_lshl_add_u64 v[22:23], v[22:23], 3, s[8:9]
	global_load_dwordx2 v[22:23], v[22:23], off
.LBB0_22:
	s_or_b64 exec, exec, s[4:5]
	s_load_dwordx2 s[12:13], s[0:1], 0x0
	v_mov_b32_e32 v24, 0
	v_mov_b32_e32 v25, 0
	s_and_saveexec_b64 s[4:5], s[6:7]
	s_cbranch_execz .LBB0_24
; %bb.23:
	v_or_b32_e32 v4, 0x60, v64
	v_mul_lo_u32 v4, s10, v4
	v_add3_u32 v24, s11, v16, v4
	v_mov_b32_e32 v25, 0
	v_lshl_add_u64 v[24:25], v[24:25], 3, s[8:9]
	global_load_dwordx2 v[24:25], v[24:25], off
.LBB0_24:
	s_or_b64 exec, exec, s[4:5]
	s_mov_b32 s14, 0x3f248dbb
	v_mov_b32_e32 v4, v19
	s_waitcnt vmcnt(0)
	v_mov_b32_e32 v30, v9
	v_mov_b32_e32 v31, v19
	;; [unrolled: 1-line block ×4, first 2 shown]
	s_mov_b32 s15, 0x3f7c1c5c
	v_pk_add_f32 v[26:27], v[4:5], v[24:25]
	v_pk_add_f32 v[32:33], v[8:9], v[22:23]
	v_pk_add_f32 v[36:37], v[30:31], v[36:37] neg_lo:[0,1] neg_hi:[0,1]
	v_mov_b32_e32 v4, v5
	v_mov_b32_e32 v5, v8
	;; [unrolled: 1-line block ×4, first 2 shown]
	s_mov_b32 s16, s15
	s_mov_b32 s17, s14
	v_pk_add_f32 v[34:35], v[6:7], v[20:21]
	v_pk_add_f32 v[4:5], v[4:5], v[8:9] neg_lo:[0,1] neg_hi:[0,1]
	v_pk_add_f32 v[6:7], v[6:7], v[20:21] neg_lo:[0,1] neg_hi:[0,1]
	s_mov_b32 s4, 0x3f5db3d7
	v_pk_mul_f32 v[20:21], v[36:37], s[16:17]
	v_pk_add_f32 v[8:9], v[12:13], v[10:11] neg_lo:[0,1] neg_hi:[0,1]
	v_pk_mul_f32 v[6:7], v[6:7], s[4:5] op_sel_hi:[1,0]
	v_pk_fma_f32 v[20:21], v[4:5], s[14:15], v[20:21]
	s_mov_b32 s16, 0x3eaf1d44
	v_pk_add_f32 v[20:21], v[6:7], v[20:21] op_sel:[1,0] op_sel_hi:[0,1]
	v_pk_mul_f32 v[22:23], v[8:9], s[16:17] op_sel_hi:[1,0]
	s_mov_b32 s18, 0x3f441b7d
	v_pk_add_f32 v[22:23], v[22:23], v[20:21] op_sel:[1,0] op_sel_hi:[0,1]
	v_pk_fma_f32 v[20:21], v[26:27], s[18:19], v[2:3] op_sel_hi:[1,0,1]
	s_mov_b32 s20, 0x3e31d0d4
	v_pk_fma_f32 v[20:21], v[32:33], s[20:21], v[20:21] op_sel_hi:[1,0,1]
	v_pk_add_f32 v[24:25], v[12:13], v[10:11]
	v_pk_fma_f32 v[20:21], v[34:35], 0.5, v[20:21] op_sel_hi:[1,0,1] neg_lo:[1,0,0] neg_hi:[1,0,0]
	s_mov_b32 s22, 0x3f708fb2
	v_pk_fma_f32 v[20:21], v[24:25], s[22:23], v[20:21] op_sel_hi:[1,0,1] neg_lo:[1,0,0] neg_hi:[1,0,0]
	v_pk_add_f32 v[40:41], v[32:33], v[26:27]
	v_pk_add_f32 v[38:39], v[20:21], v[22:23] neg_lo:[0,1] neg_hi:[0,1]
	v_pk_add_f32 v[20:21], v[20:21], v[22:23]
	v_pk_add_f32 v[42:43], v[34:35], v[40:41]
	v_mov_b32_e32 v39, v21
	s_movk_i32 s5, 0x5e8
	v_pk_add_f32 v[12:13], v[12:13], v[42:43]
	v_pk_fma_f32 v[20:21], v[22:23], 2.0, v[38:39] op_sel_hi:[1,0,1]
	v_pk_fma_f32 v[22:23], v[22:23], 2.0, v[38:39] op_sel_hi:[1,0,1] neg_lo:[1,0,0] neg_hi:[1,0,0]
	v_mad_u32_u24 v19, v64, s5, 0
	v_lshlrev_b32_e32 v30, 3, v18
	v_pk_add_f32 v[10:11], v[10:11], v[12:13]
	v_add_u32_e32 v22, v19, v30
	v_pk_add_f32 v[10:11], v[2:3], v[10:11]
	ds_write2_b64 v22, v[10:11], v[38:39] offset1:21
	v_pk_mul_f32 v[10:11], v[8:9], s[14:15] op_sel_hi:[1,0]
	v_mov_b32_e32 v12, v4
	v_mov_b32_e32 v13, v37
	s_mov_b32 s14, s15
	v_pk_fma_f32 v[42:43], v[24:25], s[18:19], v[2:3] op_sel_hi:[1,0,1]
	v_pk_fma_f32 v[10:11], v[12:13], s[14:15], v[10:11] op_sel:[0,0,1] op_sel_hi:[1,0,0] neg_lo:[0,0,1] neg_hi:[0,0,1]
	v_pk_fma_f32 v[42:43], v[26:27], s[20:21], v[42:43] op_sel_hi:[1,0,1]
	v_pk_add_f32 v[10:11], v[10:11], v[6:7] op_sel:[0,1] op_sel_hi:[1,0] neg_lo:[0,1] neg_hi:[0,1]
	v_mov_b32_e32 v38, v36
	v_mov_b32_e32 v39, v5
	v_pk_fma_f32 v[42:43], v[34:35], 0.5, v[42:43] op_sel_hi:[1,0,1] neg_lo:[1,0,0] neg_hi:[1,0,0]
	v_pk_fma_f32 v[10:11], v[38:39], s[16:17], v[10:11] op_sel_hi:[1,0,1]
	v_pk_fma_f32 v[42:43], v[32:33], s[22:23], v[42:43] op_sel_hi:[1,0,1] neg_lo:[1,0,0] neg_hi:[1,0,0]
	v_mov_b32_e32 v21, v23
	v_pk_add_f32 v[44:45], v[42:43], v[10:11] neg_lo:[0,1] neg_hi:[0,1]
	v_pk_add_f32 v[42:43], v[42:43], v[10:11]
                                        ; implicit-def: $vgpr28
	s_nop 0
	v_fma_f32 v42, 2.0, v10, v44
	v_mov_b32_e32 v45, v43
	v_fmac_f32_e32 v43, -2.0, v11
	v_mov_b32_e32 v10, v37
	v_mov_b32_e32 v11, v4
	v_pk_add_f32 v[10:11], v[8:9], v[10:11]
	v_mov_b32_e32 v4, v5
	v_mov_b32_e32 v5, v36
	v_pk_add_f32 v[4:5], v[10:11], v[4:5] neg_lo:[0,1] neg_hi:[0,1]
	v_pk_add_f32 v[10:11], v[2:3], v[34:35]
	v_pk_add_f32 v[36:37], v[24:25], v[40:41]
	v_pk_mul_f32 v[4:5], v[4:5], s[4:5] op_sel_hi:[1,0]
	v_pk_fma_f32 v[10:11], v[36:37], 0.5, v[10:11] op_sel_hi:[1,0,1] neg_lo:[1,0,0] neg_hi:[1,0,0]
	s_mov_b32 s4, 0xbf248dbb
	v_pk_add_f32 v[36:37], v[10:11], v[4:5] op_sel:[0,1] op_sel_hi:[1,0] neg_lo:[0,1] neg_hi:[0,1]
	v_pk_add_f32 v[10:11], v[10:11], v[4:5] op_sel:[0,1] op_sel_hi:[1,0]
	v_pk_fma_f32 v[2:3], v[32:33], s[18:19], v[2:3] op_sel_hi:[1,0,1]
	v_fma_f32 v10, 2.0, v5, v36
	v_mov_b32_e32 v37, v11
	v_fmac_f32_e32 v11, -2.0, v4
	v_pk_mul_f32 v[4:5], v[8:9], s[14:15] op_sel_hi:[1,0]
	v_pk_fma_f32 v[2:3], v[24:25], s[20:21], v[2:3] op_sel_hi:[1,0,1]
	v_pk_fma_f32 v[4:5], v[38:39], s[4:5], v[4:5] op_sel:[0,0,1] op_sel_hi:[1,0,0] neg_lo:[0,0,1] neg_hi:[0,0,1]
	v_pk_fma_f32 v[2:3], v[34:35], 0.5, v[2:3] op_sel_hi:[1,0,1] neg_lo:[1,0,0] neg_hi:[1,0,0]
	v_pk_add_f32 v[4:5], v[6:7], v[4:5] op_sel:[1,0] op_sel_hi:[0,1]
	v_pk_fma_f32 v[4:5], v[12:13], s[16:17], v[4:5] op_sel_hi:[1,0,1]
	v_pk_fma_f32 v[2:3], v[26:27], s[22:23], v[2:3] op_sel_hi:[1,0,1] neg_lo:[1,0,0] neg_hi:[1,0,0]
	s_movk_i32 s4, 0xfac0
	v_pk_add_f32 v[6:7], v[2:3], v[4:5] neg_lo:[0,1] neg_hi:[0,1]
	v_pk_add_f32 v[2:3], v[2:3], v[4:5]
	v_mad_i32_i24 v19, v64, s4, v19
	v_fma_f32 v2, 2.0, v4, v6
	v_mov_b32_e32 v7, v3
	v_fmac_f32_e32 v3, -2.0, v5
	v_add_u32_e32 v31, v19, v30
	ds_write2_b64 v22, v[44:45], v[36:37] offset0:42 offset1:63
	ds_write2_b64 v22, v[6:7], v[2:3] offset0:84 offset1:105
	;; [unrolled: 1-line block ×3, first 2 shown]
	v_add_u32_e32 v6, 0x2360, v31
	v_add_u32_e32 v10, 0x3320, v31
	;; [unrolled: 1-line block ×3, first 2 shown]
	ds_write_b64 v22, v[20:21] offset:1344
	s_waitcnt lgkmcnt(0)
	s_barrier
	ds_read2_b64 v[2:5], v31 offset1:252
	ds_read2_b64 v[6:9], v6 offset0:2 offset1:254
	ds_read2_b64 v[10:13], v10 offset0:2 offset1:254
	v_add_u32_e32 v32, v19, v30
	ds_read_b64 v[24:25], v31 offset:4032
	ds_read_b64 v[26:27], v32
	s_movk_i32 s4, 0x7e
	v_cmp_gt_u32_e64 s[4:5], s4, v0
                                        ; implicit-def: $vgpr22
	s_and_saveexec_b64 s[14:15], s[4:5]
	s_cbranch_execz .LBB0_26
; %bb.25:
	v_lshl_add_u32 v18, v18, 3, v19
	ds_read_b64 v[22:23], v31 offset:17136
	ds_read_b64 v[20:21], v18 offset:2016
	s_waitcnt lgkmcnt(1)
	v_mov_b32_e32 v28, v23
	s_waitcnt lgkmcnt(0)
	v_mov_b32_e32 v23, v21
.LBB0_26:
	s_or_b64 exec, exec, s[14:15]
	v_mul_lo_u16_e32 v19, 29, v1
	v_lshrrev_b16_e32 v43, 8, v19
	v_mul_lo_u16_e32 v19, 9, v43
	v_sub_u16_e32 v19, v1, v19
	v_and_b32_e32 v44, 0xff, v19
	v_mul_lo_u16_e32 v19, 57, v15
	v_lshrrev_b16_e32 v46, 9, v19
	v_mul_lo_u16_e32 v19, 9, v46
	v_sub_u16_e32 v36, v15, v19
	v_mul_lo_u16_e32 v15, 57, v17
	v_lshrrev_b16_e32 v47, 9, v15
	v_mul_lo_u16_e32 v15, 9, v47
	v_sub_u16_e32 v15, v17, v15
	v_mul_lo_u16_e32 v18, 29, v64
	v_and_b32_e32 v17, 0xff, v15
	v_mul_lo_u16_e32 v15, 57, v29
	v_lshrrev_b16_e32 v33, 8, v18
	v_lshrrev_b16_e32 v15, 9, v15
	v_mul_lo_u16_e32 v18, 9, v33
	v_mul_lo_u16_e32 v15, 9, v15
	v_sub_u16_e32 v42, v64, v18
	v_mov_b32_e32 v18, 3
	v_sub_u16_e32 v15, v29, v15
	v_lshlrev_b32_sdwa v29, v18, v15 dst_sel:DWORD dst_unused:UNUSED_PAD src0_sel:DWORD src1_sel:BYTE_0
	v_lshlrev_b32_sdwa v21, v18, v42 dst_sel:DWORD dst_unused:UNUSED_PAD src0_sel:DWORD src1_sel:BYTE_0
	v_lshlrev_b32_e32 v37, 3, v17
	global_load_dwordx2 v[18:19], v29, s[12:13]
	global_load_dwordx2 v[34:35], v37, s[12:13]
	v_and_b32_e32 v29, 0xff, v36
	v_lshlrev_b32_e32 v48, 3, v29
	v_lshlrev_b32_e32 v45, 3, v44
	global_load_dwordx2 v[36:37], v48, s[12:13]
	global_load_dwordx2 v[38:39], v45, s[12:13]
	;; [unrolled: 1-line block ×3, first 2 shown]
	v_mov_b32_e32 v21, v23
	s_movk_i32 s16, 0xa8
	v_mad_legacy_u16 v23, v33, 18, v42
	v_mad_u32_u24 v29, v46, 18, v29
	v_mul_u32_u24_sdwa v23, v23, s16 dst_sel:DWORD dst_unused:UNUSED_PAD src0_sel:BYTE_0 src1_sel:DWORD
	v_mad_u32_u24 v33, v43, 18, v44
	v_mul_u32_u24_e32 v29, 0xa8, v29
	v_add3_u32 v50, 0, v23, v30
	v_mul_u32_u24_e32 v23, 0xa8, v33
	v_add3_u32 v51, 0, v29, v30
	v_mad_u32_u24 v17, v47, 18, v17
	v_add3_u32 v33, 0, v23, v30
	v_mul_u32_u24_e32 v17, 0xa8, v17
	s_waitcnt lgkmcnt(0)
	s_barrier
	v_add3_u32 v17, 0, v17, v30
	s_waitcnt vmcnt(4)
	v_pk_mul_f32 v[28:29], v[28:29], v[18:19] op_sel_hi:[0,1]
	s_waitcnt vmcnt(3)
	v_pk_mul_f32 v[42:43], v[34:35], v[12:13] op_sel:[0,1]
	v_pk_fma_f32 v[44:45], v[22:23], v[18:19], v[28:29] op_sel:[0,0,1] op_sel_hi:[1,1,0]
	v_pk_fma_f32 v[18:19], v[22:23], v[18:19], v[28:29] op_sel:[0,0,1] op_sel_hi:[0,1,0] neg_lo:[1,0,0] neg_hi:[1,0,0]
	s_waitcnt vmcnt(2)
	v_pk_mul_f32 v[22:23], v[36:37], v[10:11] op_sel:[0,1]
	s_waitcnt vmcnt(1)
	v_pk_mul_f32 v[28:29], v[38:39], v[8:9] op_sel:[0,1]
	;; [unrolled: 2-line block ×3, first 2 shown]
	v_pk_fma_f32 v[48:49], v[34:35], v[12:13], v[42:43] op_sel:[0,0,1] op_sel_hi:[1,1,0]
	v_pk_fma_f32 v[12:13], v[34:35], v[12:13], v[42:43] op_sel:[0,0,1] op_sel_hi:[1,0,0] neg_lo:[1,0,0] neg_hi:[1,0,0]
	v_pk_fma_f32 v[34:35], v[36:37], v[10:11], v[22:23] op_sel:[0,0,1] op_sel_hi:[1,1,0]
	v_pk_fma_f32 v[10:11], v[36:37], v[10:11], v[22:23] op_sel:[0,0,1] op_sel_hi:[1,0,0] neg_lo:[1,0,0] neg_hi:[1,0,0]
	;; [unrolled: 2-line block ×4, first 2 shown]
	v_mov_b32_e32 v45, v19
	v_mov_b32_e32 v49, v13
	;; [unrolled: 1-line block ×4, first 2 shown]
	v_pk_add_f32 v[12:13], v[20:21], v[44:45] neg_lo:[0,1] neg_hi:[0,1]
	v_mov_b32_e32 v35, v11
	v_pk_add_f32 v[18:19], v[26:27], v[48:49] neg_lo:[0,1] neg_hi:[0,1]
	v_pk_add_f32 v[8:9], v[4:5], v[22:23] neg_lo:[0,1] neg_hi:[0,1]
	;; [unrolled: 1-line block ×3, first 2 shown]
	v_pk_fma_f32 v[20:21], v[20:21], 2.0, v[12:13] op_sel_hi:[1,0,1] neg_lo:[0,0,1] neg_hi:[0,0,1]
	v_pk_add_f32 v[6:7], v[24:25], v[34:35] neg_lo:[0,1] neg_hi:[0,1]
	v_pk_fma_f32 v[10:11], v[26:27], 2.0, v[18:19] op_sel_hi:[1,0,1] neg_lo:[0,0,1] neg_hi:[0,0,1]
	v_pk_fma_f32 v[2:3], v[2:3], 2.0, v[22:23] op_sel_hi:[1,0,1] neg_lo:[0,0,1] neg_hi:[0,0,1]
	v_pk_fma_f32 v[24:25], v[24:25], 2.0, v[6:7] op_sel_hi:[1,0,1] neg_lo:[0,0,1] neg_hi:[0,0,1]
	v_pk_fma_f32 v[4:5], v[4:5], 2.0, v[8:9] op_sel_hi:[1,0,1] neg_lo:[0,0,1] neg_hi:[0,0,1]
	ds_write2_b64 v50, v[2:3], v[22:23] offset1:189
	ds_write2_b64 v33, v[4:5], v[8:9] offset1:189
	;; [unrolled: 1-line block ×4, first 2 shown]
	s_and_saveexec_b64 s[14:15], s[4:5]
	s_cbranch_execz .LBB0_28
; %bb.27:
	v_mul_u32_u24_sdwa v2, v15, s16 dst_sel:DWORD dst_unused:UNUSED_PAD src0_sel:BYTE_0 src1_sel:DWORD
	v_add3_u32 v2, 0, v2, v30
	v_add_u32_e32 v2, 0x3a00, v2
	ds_write2_b64 v2, v[20:21], v[12:13] offset0:34 offset1:223
.LBB0_28:
	s_or_b64 exec, exec, s[14:15]
	s_waitcnt lgkmcnt(0)
	s_barrier
	ds_read_b64 v[28:29], v31
	ds_read_b64 v[54:55], v31 offset:3024
	ds_read_b64 v[58:59], v31 offset:9072
	;; [unrolled: 1-line block ×3, first 2 shown]
	ds_read_b64 v[62:63], v32
	ds_read_b64 v[56:57], v31 offset:15120
                                        ; implicit-def: $vgpr23
                                        ; implicit-def: $vgpr25
	s_and_saveexec_b64 s[14:15], s[4:5]
	s_cbranch_execz .LBB0_30
; %bb.29:
	v_add_u32_e32 v2, 0x7e0, v31
	ds_read_b64 v[18:19], v31 offset:5040
	ds_read_b64 v[20:21], v31 offset:8064
	;; [unrolled: 1-line block ×4, first 2 shown]
	ds_read_b64 v[10:11], v2
	ds_read_b64 v[22:23], v31 offset:17136
.LBB0_30:
	s_or_b64 exec, exec, s[14:15]
	v_mul_lo_u16_e32 v2, 15, v1
	v_lshrrev_b16_e32 v15, 8, v2
	v_mul_lo_u16_e32 v2, 18, v15
	s_load_dwordx2 s[4:5], s[0:1], 0x8
	v_sub_u16_e32 v2, v1, v2
	v_and_b32_e32 v2, 0xff, v2
	v_mul_u32_u24_e32 v3, 5, v2
	v_lshlrev_b32_e32 v65, 3, v3
	v_mul_lo_u32 v3, v14, v2
	v_mov_b32_e32 v17, 3
	v_add_u32_e32 v5, 18, v2
	v_lshlrev_b32_sdwa v4, v17, v3 dst_sel:DWORD dst_unused:UNUSED_PAD src0_sel:DWORD src1_sel:BYTE_0
	v_lshlrev_b32_sdwa v3, v17, v3 dst_sel:DWORD dst_unused:UNUSED_PAD src0_sel:DWORD src1_sel:BYTE_1
	v_mul_lo_u32 v5, v14, v5
	v_lshlrev_b32_sdwa v6, v17, v5 dst_sel:DWORD dst_unused:UNUSED_PAD src0_sel:DWORD src1_sel:BYTE_0
	v_lshlrev_b32_sdwa v5, v17, v5 dst_sel:DWORD dst_unused:UNUSED_PAD src0_sel:DWORD src1_sel:BYTE_1
	s_waitcnt lgkmcnt(0)
	global_load_dwordx2 v[34:35], v4, s[4:5]
	global_load_dwordx2 v[36:37], v3, s[4:5] offset:2048
	global_load_dwordx2 v[30:31], v6, s[4:5]
	global_load_dwordx2 v[32:33], v5, s[4:5] offset:2048
	v_add_u32_e32 v3, 36, v2
	v_mul_lo_u32 v3, v14, v3
	v_add_u32_e32 v5, 54, v2
	v_lshlrev_b32_sdwa v4, v17, v3 dst_sel:DWORD dst_unused:UNUSED_PAD src0_sel:DWORD src1_sel:BYTE_0
	v_lshlrev_b32_sdwa v3, v17, v3 dst_sel:DWORD dst_unused:UNUSED_PAD src0_sel:DWORD src1_sel:BYTE_1
	v_mul_lo_u32 v5, v14, v5
	v_lshlrev_b32_sdwa v6, v17, v5 dst_sel:DWORD dst_unused:UNUSED_PAD src0_sel:DWORD src1_sel:BYTE_0
	v_lshlrev_b32_sdwa v5, v17, v5 dst_sel:DWORD dst_unused:UNUSED_PAD src0_sel:DWORD src1_sel:BYTE_1
	global_load_dwordx2 v[42:43], v4, s[4:5]
	global_load_dwordx2 v[44:45], v3, s[4:5] offset:2048
	global_load_dwordx2 v[38:39], v6, s[4:5]
	global_load_dwordx2 v[40:41], v5, s[4:5] offset:2048
	v_add_u32_e32 v3, 0x48, v2
	v_mul_lo_u32 v3, v14, v3
	v_add_u32_e32 v2, 0x5a, v2
	v_lshlrev_b32_sdwa v66, v17, v3 dst_sel:DWORD dst_unused:UNUSED_PAD src0_sel:DWORD src1_sel:BYTE_0
	v_mul_lo_u32 v2, v14, v2
	v_lshlrev_b32_sdwa v67, v17, v3 dst_sel:DWORD dst_unused:UNUSED_PAD src0_sel:DWORD src1_sel:BYTE_1
	v_lshlrev_b32_sdwa v68, v17, v2 dst_sel:DWORD dst_unused:UNUSED_PAD src0_sel:DWORD src1_sel:BYTE_0
	v_lshlrev_b32_sdwa v69, v17, v2 dst_sel:DWORD dst_unused:UNUSED_PAD src0_sel:DWORD src1_sel:BYTE_1
	global_load_dwordx2 v[50:51], v66, s[4:5]
	global_load_dwordx2 v[52:53], v67, s[4:5] offset:2048
	global_load_dwordx2 v[46:47], v68, s[4:5]
	global_load_dwordx2 v[48:49], v69, s[4:5] offset:2048
	global_load_dwordx2 v[26:27], v65, s[12:13] offset:104
	global_load_dwordx4 v[2:5], v65, s[12:13] offset:88
	global_load_dwordx4 v[6:9], v65, s[12:13] offset:72
	v_add_u32_e32 v16, s11, v16
	s_and_saveexec_b64 s[0:1], s[6:7]
	s_cbranch_execz .LBB0_32
; %bb.31:
	v_and_b32_e32 v98, 0xffff, v64
	v_add_u32_e32 v114, 0x5a, v98
	v_add_u32_e32 v106, 0x48, v98
	v_mul_lo_u32 v64, v14, v114
	v_mul_lo_u32 v66, v14, v106
	v_lshlrev_b32_sdwa v65, v17, v64 dst_sel:DWORD dst_unused:UNUSED_PAD src0_sel:DWORD src1_sel:BYTE_0
	v_lshlrev_b32_sdwa v64, v17, v64 dst_sel:DWORD dst_unused:UNUSED_PAD src0_sel:DWORD src1_sel:BYTE_1
	v_lshlrev_b32_sdwa v67, v17, v66 dst_sel:DWORD dst_unused:UNUSED_PAD src0_sel:DWORD src1_sel:BYTE_0
	v_lshlrev_b32_sdwa v66, v17, v66 dst_sel:DWORD dst_unused:UNUSED_PAD src0_sel:DWORD src1_sel:BYTE_1
	v_add_u32_e32 v104, 54, v98
	v_add_u32_e32 v102, 36, v98
	v_mul_lo_u32 v68, v14, v98
	global_load_dwordx2 v[72:73], v65, s[4:5]
	global_load_dwordx2 v[74:75], v64, s[4:5] offset:2048
	global_load_dwordx2 v[76:77], v67, s[4:5]
	global_load_dwordx2 v[78:79], v66, s[4:5] offset:2048
	v_mul_lo_u32 v64, v14, v104
	v_mul_lo_u32 v66, v14, v102
	v_lshlrev_b32_sdwa v69, v17, v68 dst_sel:DWORD dst_unused:UNUSED_PAD src0_sel:DWORD src1_sel:BYTE_0
	v_add_u32_e32 v100, 18, v98
	v_lshlrev_b32_sdwa v65, v17, v64 dst_sel:DWORD dst_unused:UNUSED_PAD src0_sel:DWORD src1_sel:BYTE_0
	v_lshlrev_b32_sdwa v64, v17, v64 dst_sel:DWORD dst_unused:UNUSED_PAD src0_sel:DWORD src1_sel:BYTE_1
	v_lshlrev_b32_sdwa v67, v17, v66 dst_sel:DWORD dst_unused:UNUSED_PAD src0_sel:DWORD src1_sel:BYTE_0
	v_lshlrev_b32_sdwa v66, v17, v66 dst_sel:DWORD dst_unused:UNUSED_PAD src0_sel:DWORD src1_sel:BYTE_1
	v_lshlrev_b32_sdwa v68, v17, v68 dst_sel:DWORD dst_unused:UNUSED_PAD src0_sel:DWORD src1_sel:BYTE_1
	global_load_dwordx2 v[80:81], v69, s[4:5]
	global_load_dwordx2 v[82:83], v68, s[4:5] offset:2048
	global_load_dwordx2 v[84:85], v65, s[4:5]
	global_load_dwordx2 v[86:87], v64, s[4:5] offset:2048
	;; [unrolled: 2-line block ×3, first 2 shown]
	v_mul_lo_u32 v14, v14, v100
	v_lshlrev_b32_sdwa v64, v17, v14 dst_sel:DWORD dst_unused:UNUSED_PAD src0_sel:DWORD src1_sel:BYTE_0
	v_lshlrev_b32_sdwa v14, v17, v14 dst_sel:DWORD dst_unused:UNUSED_PAD src0_sel:DWORD src1_sel:BYTE_1
	global_load_dwordx2 v[92:93], v64, s[4:5]
	global_load_dwordx2 v[94:95], v14, s[4:5] offset:2048
	v_mul_u32_u24_e32 v14, 5, v98
	v_lshlrev_b32_e32 v14, 3, v14
	global_load_dwordx4 v[64:67], v14, s[12:13] offset:72
	global_load_dwordx4 v[68:71], v14, s[12:13] offset:88
	global_load_dwordx2 v[96:97], v14, s[12:13] offset:104
	v_mad_u64_u32 v[98:99], s[4:5], s10, v98, v[16:17]
	v_mov_b32_e32 v99, 0
	v_mad_u64_u32 v[100:101], s[4:5], s10, v100, v[16:17]
	v_mad_u64_u32 v[102:103], s[4:5], s10, v102, v[16:17]
	;; [unrolled: 1-line block ×4, first 2 shown]
	v_lshl_add_u64 v[108:109], v[98:99], 3, s[8:9]
	s_mov_b32 s6, -0.5
	s_mov_b32 s12, 0xbf5db3d7
	s_mov_b32 s13, s6
	v_mov_b32_e32 v105, v99
	v_mov_b32_e32 v101, v99
	;; [unrolled: 1-line block ×3, first 2 shown]
	v_lshl_add_u64 v[104:105], v[104:105], 3, s[8:9]
	v_mov_b32_e32 v107, v99
	v_lshl_add_u64 v[100:101], v[100:101], 3, s[8:9]
	v_lshl_add_u64 v[102:103], v[102:103], 3, s[8:9]
	s_waitcnt vmcnt(13)
	v_pk_mul_f32 v[110:111], v[72:73], v[74:75] op_sel:[1,0] op_sel_hi:[0,1]
	v_mov_b32_e32 v14, v75
	s_waitcnt vmcnt(11)
	v_mul_f32_e32 v110, v76, v79
	v_fmac_f32_e32 v110, v77, v78
	s_waitcnt vmcnt(9)
	v_mul_f32_e32 v17, v81, v83
	v_mul_f32_e32 v115, v80, v83
	;; [unrolled: 1-line block ×3, first 2 shown]
	s_waitcnt vmcnt(7)
	v_mov_b32_e32 v98, v87
	s_waitcnt vmcnt(5)
	v_mul_f32_e32 v79, v89, v91
	v_pk_mul_f32 v[112:113], v[84:85], v[86:87] op_sel:[1,0] op_sel_hi:[0,1]
	v_fma_f32 v17, v80, v82, -v17
	v_fma_f32 v112, v76, v78, -v83
	;; [unrolled: 1-line block ×3, first 2 shown]
	v_pk_mul_f32 v[76:77], v[72:73], v[14:15] op_sel:[1,0] op_sel_hi:[0,1]
	v_mov_b32_e32 v14, v111
	v_pk_mul_f32 v[78:79], v[84:85], v[98:99] op_sel:[1,0] op_sel_hi:[0,1]
	v_mov_b32_e32 v80, v113
	v_pk_fma_f32 v[76:77], v[72:73], v[74:75], v[76:77] neg_lo:[0,0,1] neg_hi:[0,0,1]
	v_pk_fma_f32 v[72:73], v[72:73], v[74:75], v[14:15] op_sel:[1,0,0] op_sel_hi:[0,1,1]
	v_pk_fma_f32 v[74:75], v[84:85], v[86:87], v[78:79] neg_lo:[0,0,1] neg_hi:[0,0,1]
	v_pk_fma_f32 v[78:79], v[84:85], v[86:87], v[80:81] op_sel:[1,0,0] op_sel_hi:[0,1,1]
	s_waitcnt vmcnt(2)
	v_pk_mul_f32 v[84:85], v[66:67], v[62:63] op_sel:[0,1]
	v_mul_f32_e32 v116, v88, v91
	v_pk_fma_f32 v[86:87], v[66:67], v[62:63], v[84:85] op_sel:[0,0,1] op_sel_hi:[1,1,0]
	v_pk_fma_f32 v[62:63], v[66:67], v[62:63], v[84:85] op_sel:[0,0,1] op_sel_hi:[1,0,0] neg_lo:[1,0,0] neg_hi:[1,0,0]
	s_waitcnt vmcnt(1)
	v_pk_mul_f32 v[84:85], v[68:69], v[58:59] op_sel:[0,1]
	v_mov_b32_e32 v87, v63
	v_pk_mul_f32 v[62:63], v[70:71], v[60:61] op_sel:[0,1]
	v_fmac_f32_e32 v116, v89, v90
	v_pk_fma_f32 v[66:67], v[70:71], v[60:61], v[62:63] op_sel:[0,0,1] op_sel_hi:[1,1,0]
	v_pk_fma_f32 v[60:61], v[70:71], v[60:61], v[62:63] op_sel:[0,0,1] op_sel_hi:[1,0,0] neg_lo:[1,0,0] neg_hi:[1,0,0]
	v_pk_fma_f32 v[88:89], v[68:69], v[58:59], v[84:85] op_sel:[0,0,1] op_sel_hi:[1,1,0]
	v_pk_fma_f32 v[58:59], v[68:69], v[58:59], v[84:85] op_sel:[0,0,1] op_sel_hi:[1,0,0] neg_lo:[1,0,0] neg_hi:[1,0,0]
	v_fmac_f32_e32 v115, v82, v81
	v_mad_u64_u32 v[82:83], s[4:5], s10, v114, v[16:17]
	v_mov_b32_e32 v67, v61
	v_mov_b32_e32 v89, v59
	s_waitcnt vmcnt(0)
	v_pk_mul_f32 v[58:59], v[96:97], v[56:57] op_sel:[0,1]
	v_pk_add_f32 v[60:61], v[86:87], v[66:67] neg_lo:[0,1] neg_hi:[0,1]
	s_mov_b32 s4, 0x3f5db3d7
	v_pk_add_f32 v[62:63], v[86:87], v[66:67]
	v_pk_fma_f32 v[68:69], v[96:97], v[56:57], v[58:59] op_sel:[0,0,1] op_sel_hi:[1,1,0]
	v_pk_fma_f32 v[56:57], v[96:97], v[56:57], v[58:59] op_sel:[0,0,1] op_sel_hi:[1,0,0] neg_lo:[1,0,0] neg_hi:[1,0,0]
	v_mul_f32_e32 v91, v93, v95
	v_pk_mul_f32 v[60:61], v[60:61], s[4:5] op_sel_hi:[1,0]
	v_pk_fma_f32 v[62:63], -0.5, v[62:63], v[28:29] op_sel_hi:[0,1,1]
	v_mov_b32_e32 v69, v57
	v_pk_mul_f32 v[84:85], v[64:65], v[54:55] op_sel:[0,1]
	v_mul_f32_e32 v95, v92, v95
	v_fma_f32 v92, v92, v94, -v91
	v_pk_add_f32 v[70:71], v[62:63], v[60:61] op_sel:[0,1] op_sel_hi:[1,0]
	v_pk_add_f32 v[60:61], v[62:63], v[60:61] op_sel:[0,1] op_sel_hi:[1,0] neg_lo:[0,1] neg_hi:[0,1]
	v_pk_add_f32 v[58:59], v[88:89], v[68:69]
	v_pk_fma_f32 v[90:91], v[64:65], v[54:55], v[84:85] op_sel:[0,0,1] op_sel_hi:[1,0,0]
	v_pk_fma_f32 v[54:55], v[64:65], v[54:55], v[84:85] op_sel:[0,0,1] op_sel_hi:[1,0,0] neg_lo:[1,0,0] neg_hi:[1,0,0]
	v_mov_b32_e32 v63, v61
	v_pk_add_f32 v[56:57], v[88:89], v[68:69] neg_lo:[0,1] neg_hi:[0,1]
	v_mov_b32_e32 v91, v55
	v_mov_b32_e32 v61, v90
	v_fmac_f32_e32 v55, -0.5, v59
	v_fmac_f32_e32 v61, -0.5, v58
	v_fmamk_f32 v54, v56, 0xbf5db3d7, v55
	v_fmac_f32_e32 v55, 0x3f5db3d7, v56
	v_mov_b32_e32 v62, v70
	v_fmamk_f32 v14, v57, 0x3f5db3d7, v61
	v_mul_f32_e32 v70, 0.5, v55
	v_mul_f32_e32 v84, 0xbf5db3d7, v55
	s_mov_b32 s7, s4
	v_pk_mul_f32 v[54:55], v[54:55], s[12:13] op_sel_hi:[0,1]
	v_pk_fma_f32 v[54:55], v[14:15], s[6:7], v[54:55] op_sel_hi:[0,1,1]
	v_pk_add_f32 v[58:59], v[62:63], v[54:55] neg_lo:[0,1] neg_hi:[0,1]
	v_fmac_f32_e32 v61, 0xbf5db3d7, v57
	v_pk_add_f32 v[56:57], v[90:91], v[88:89]
	v_pk_mul_f32 v[64:65], v[58:59], v[72:73] op_sel_hi:[1,0]
	v_fmac_f32_e32 v70, 0x3f5db3d7, v61
	v_fmac_f32_e32 v84, 0.5, v61
	v_pk_add_f32 v[56:57], v[56:57], v[68:69]
	v_pk_fma_f32 v[68:69], v[58:59], v[76:77], v[64:65] op_sel:[0,0,1] op_sel_hi:[1,1,0]
	v_pk_fma_f32 v[58:59], v[58:59], v[76:77], v[64:65] op_sel:[0,0,1] op_sel_hi:[1,0,0] neg_lo:[0,0,1] neg_hi:[0,0,1]
	v_sub_f32_e32 v14, v71, v70
	v_sub_f32_e32 v58, v60, v84
	v_pk_add_f32 v[28:29], v[28:29], v[86:87]
	v_mul_f32_e32 v61, v58, v110
	v_mul_f32_e32 v64, v14, v110
	v_pk_add_f32 v[28:29], v[28:29], v[66:67]
	v_pk_add_f32 v[54:55], v[62:63], v[54:55]
	v_fmac_f32_e32 v95, v93, v94
	v_fma_f32 v65, v14, v112, -v61
	v_fmac_f32_e32 v64, v58, v112
	v_pk_add_f32 v[66:67], v[28:29], v[56:57] neg_lo:[0,1] neg_hi:[0,1]
	v_mul_f32_e32 v14, v54, v116
	v_mul_f32_e32 v62, v55, v116
	v_add_f32_e32 v58, v60, v84
	v_pk_mul_f32 v[72:73], v[66:67], v[78:79] op_sel_hi:[1,0]
	v_fma_f32 v63, v55, v117, -v14
	v_fmac_f32_e32 v62, v54, v117
	v_add_f32_e32 v14, v71, v70
	v_mul_f32_e32 v54, v58, v95
	v_pk_add_f32 v[28:29], v[28:29], v[56:57]
	v_mov_b32_e32 v83, v99
	v_pk_fma_f32 v[76:77], v[66:67], v[74:75], v[72:73] op_sel:[0,0,1] op_sel_hi:[1,1,0]
	v_pk_fma_f32 v[66:67], v[66:67], v[74:75], v[72:73] op_sel:[0,0,1] op_sel_hi:[1,0,0] neg_lo:[0,0,1] neg_hi:[0,0,1]
	v_fma_f32 v55, v14, v92, -v54
	v_mul_f32_e32 v54, v14, v95
	v_mul_f32_e32 v14, v28, v115
	;; [unrolled: 1-line block ×3, first 2 shown]
	v_lshl_add_u64 v[82:83], v[82:83], 3, s[8:9]
	v_fma_f32 v57, v29, v17, -v14
	v_fmac_f32_e32 v56, v28, v17
	v_mov_b32_e32 v77, v67
	v_mov_b32_e32 v69, v59
	v_lshl_add_u64 v[80:81], v[106:107], 3, s[8:9]
	v_fmac_f32_e32 v54, v58, v92
	global_store_dwordx2 v[108:109], v[56:57], off
	global_store_dwordx2 v[100:101], v[54:55], off
	;; [unrolled: 1-line block ×6, first 2 shown]
.LBB0_32:
	s_or_b64 exec, exec, s[0:1]
	s_movk_i32 s4, 0x7e
	s_movk_i32 s0, 0x7d
	v_cmp_lt_u32_e64 s[0:1], s0, v0
	v_cmp_gt_u32_e64 s[4:5], s4, v0
	v_cndmask_b32_e64 v14, 0, 1, s[2:3]
	s_or_b64 vcc, s[0:1], vcc
	v_cndmask_b32_e64 v0, 0, 1, s[4:5]
	v_cndmask_b32_e32 v0, v14, v0, vcc
	v_and_b32_e32 v0, 1, v0
	v_cmp_eq_u32_e32 vcc, 1, v0
	s_and_saveexec_b64 s[0:1], vcc
	s_cbranch_execz .LBB0_34
; %bb.33:
	s_waitcnt vmcnt(13)
	v_mul_f32_e32 v0, v35, v37
	v_fma_f32 v14, v34, v36, -v0
	s_waitcnt vmcnt(11)
	v_mul_f32_e32 v0, v31, v33
	v_fma_f32 v54, v30, v32, -v0
	v_mul_f32_e32 v55, v30, v33
	s_waitcnt vmcnt(9)
	v_mul_f32_e32 v0, v43, v45
	v_fmac_f32_e32 v55, v31, v32
	v_fma_f32 v56, v42, v44, -v0
	s_waitcnt vmcnt(7)
	v_mov_b32_e32 v0, v41
	v_pk_mul_f32 v[30:31], v[38:39], v[40:41] op_sel:[1,0] op_sel_hi:[0,1]
	v_pk_mul_f32 v[28:29], v[38:39], v[0:1] op_sel:[1,0] op_sel_hi:[0,1]
	v_mov_b32_e32 v0, v31
	v_mul_f32_e32 v17, v34, v37
	v_mul_f32_e32 v42, v42, v45
	v_pk_fma_f32 v[30:31], v[38:39], v[40:41], v[0:1] op_sel:[1,0,0] op_sel_hi:[0,1,1]
	s_waitcnt vmcnt(5)
	v_mul_f32_e32 v0, v51, v53
	v_fmac_f32_e32 v17, v35, v36
	v_fmac_f32_e32 v42, v43, v44
	v_fma_f32 v43, v50, v52, -v0
	s_waitcnt vmcnt(3)
	v_mov_b32_e32 v0, v49
	v_pk_mul_f32 v[34:35], v[46:47], v[48:49] op_sel:[1,0] op_sel_hi:[0,1]
	v_pk_mul_f32 v[32:33], v[46:47], v[0:1] op_sel:[1,0] op_sel_hi:[0,1]
	v_mov_b32_e32 v0, v35
	v_pk_fma_f32 v[34:35], v[46:47], v[48:49], v[0:1] op_sel:[1,0,0] op_sel_hi:[0,1,1]
	v_mov_b32_e32 v0, v21
	s_waitcnt vmcnt(0)
	v_pk_mul_f32 v[36:37], v[0:1], v[8:9] op_sel_hi:[0,1]
	v_pk_fma_f32 v[28:29], v[38:39], v[40:41], v[28:29] neg_lo:[0,0,1] neg_hi:[0,0,1]
	v_pk_fma_f32 v[38:39], v[20:21], v[8:9], v[36:37] op_sel:[0,0,1] op_sel_hi:[1,1,0]
	v_pk_fma_f32 v[8:9], v[20:21], v[8:9], v[36:37] op_sel:[0,0,1] op_sel_hi:[0,1,0] neg_lo:[1,0,0] neg_hi:[1,0,0]
	v_mov_b32_e32 v0, v25
	v_mov_b32_e32 v39, v9
	v_pk_mul_f32 v[8:9], v[0:1], v[4:5] op_sel_hi:[0,1]
	v_mov_b32_e32 v0, v19
	v_pk_mul_f32 v[36:37], v[0:1], v[6:7] op_sel_hi:[0,1]
	v_mov_b32_e32 v0, v13
	v_pk_fma_f32 v[40:41], v[18:19], v[6:7], v[36:37] op_sel:[0,0,1] op_sel_hi:[0,1,0]
	v_pk_fma_f32 v[6:7], v[18:19], v[6:7], v[36:37] op_sel:[0,0,1] op_sel_hi:[0,1,0] neg_lo:[1,0,0] neg_hi:[1,0,0]
	v_pk_mul_f32 v[18:19], v[0:1], v[2:3] op_sel_hi:[0,1]
	v_pk_fma_f32 v[36:37], v[12:13], v[2:3], v[18:19] op_sel:[0,0,1] op_sel_hi:[1,1,0]
	v_pk_fma_f32 v[2:3], v[12:13], v[2:3], v[18:19] op_sel:[0,0,1] op_sel_hi:[0,1,0] neg_lo:[1,0,0] neg_hi:[1,0,0]
	v_mov_b32_e32 v0, v23
	v_mov_b32_e32 v37, v3
	v_pk_mul_f32 v[2:3], v[0:1], v[26:27] op_sel_hi:[0,1]
	v_pk_fma_f32 v[12:13], v[22:23], v[26:27], v[2:3] op_sel:[0,0,1] op_sel_hi:[1,1,0]
	v_pk_fma_f32 v[2:3], v[22:23], v[26:27], v[2:3] op_sel:[0,0,1] op_sel_hi:[0,1,0] neg_lo:[1,0,0] neg_hi:[1,0,0]
	v_pk_fma_f32 v[20:21], v[24:25], v[4:5], v[8:9] op_sel:[0,0,1] op_sel_hi:[1,1,0]
	v_pk_fma_f32 v[4:5], v[24:25], v[4:5], v[8:9] op_sel:[0,0,1] op_sel_hi:[0,1,0] neg_lo:[1,0,0] neg_hi:[1,0,0]
	v_mov_b32_e32 v13, v3
	v_mov_b32_e32 v21, v5
	v_pk_add_f32 v[2:3], v[36:37], v[12:13]
	v_pk_add_f32 v[4:5], v[38:39], v[20:21]
	v_pk_add_f32 v[8:9], v[38:39], v[20:21] neg_lo:[0,1] neg_hi:[0,1]
	s_mov_b32 s0, 0x3f5db3d7
	v_mov_b32_e32 v41, v7
	v_mov_b32_e32 v0, v40
	v_pk_add_f32 v[18:19], v[36:37], v[12:13] neg_lo:[0,1] neg_hi:[0,1]
	v_fmac_f32_e32 v7, -0.5, v3
	v_pk_fma_f32 v[4:5], -0.5, v[4:5], v[10:11] op_sel_hi:[0,1,1]
	v_pk_mul_f32 v[8:9], v[8:9], s[0:1] op_sel_hi:[1,0]
	v_fmac_f32_e32 v0, -0.5, v2
	v_pk_add_f32 v[22:23], v[40:41], v[36:37]
	v_fmamk_f32 v3, v18, 0x3f5db3d7, v7
	v_pk_add_f32 v[24:25], v[4:5], v[8:9] op_sel:[0,1] op_sel_hi:[1,0] neg_lo:[0,1] neg_hi:[0,1]
	v_pk_add_f32 v[4:5], v[8:9], v[4:5] op_sel:[1,0] op_sel_hi:[0,1]
	s_mov_b32 s2, -0.5
	v_fmamk_f32 v2, v19, 0xbf5db3d7, v0
	v_pk_add_f32 v[12:13], v[22:23], v[12:13]
	v_fmac_f32_e32 v7, 0xbf5db3d7, v18
	v_mul_f32_e32 v22, 0xbf5db3d7, v3
	v_mul_f32_e32 v23, 0.5, v3
	v_mov_b32_e32 v8, v4
	s_mov_b32 s4, 0xbf5db3d7
	v_fmac_f32_e32 v22, 0.5, v2
	v_fmac_f32_e32 v23, 0x3f5db3d7, v2
	v_pk_add_f32 v[2:3], v[10:11], v[38:39]
	v_mov_b32_e32 v4, v7
	s_mov_b32 s5, s2
	v_fmac_f32_e32 v0, 0x3f5db3d7, v19
	v_pk_add_f32 v[2:3], v[2:3], v[20:21]
	s_mov_b32 s3, s0
	v_pk_mul_f32 v[6:7], v[4:5], s[4:5] op_sel_hi:[0,1]
	v_mov_b32_e32 v9, v25
	v_pk_add_f32 v[10:11], v[2:3], v[12:13]
	v_add_f32_e32 v20, v24, v22
	v_pk_fma_f32 v[6:7], v[0:1], s[2:3], v[6:7] op_sel_hi:[0,1,1]
	v_mul_f32_e32 v44, v50, v53
	v_pk_add_f32 v[18:19], v[8:9], v[6:7]
	v_add_f32_e32 v0, v5, v23
	v_sub_f32_e32 v21, v24, v22
	v_pk_add_f32 v[2:3], v[2:3], v[12:13] neg_lo:[0,1] neg_hi:[0,1]
	v_sub_f32_e32 v22, v5, v23
	v_pk_add_f32 v[4:5], v[8:9], v[6:7] neg_lo:[0,1] neg_hi:[0,1]
	v_mul_f32_e32 v6, v11, v17
	v_mul_f32_e32 v9, v20, v55
	v_fmac_f32_e32 v44, v51, v52
	v_fmac_f32_e32 v6, v10, v14
	v_mul_f32_e32 v7, v10, v17
	v_mul_f32_e32 v8, v0, v55
	v_fma_f32 v9, v0, v54, -v9
	v_mul_f32_e32 v10, v19, v42
	v_mul_f32_e32 v0, v18, v42
	v_pk_mul_f32 v[12:13], v[2:3], v[30:31] op_sel_hi:[1,0]
	v_fma_f32 v7, v11, v14, -v7
	v_fmac_f32_e32 v10, v18, v56
	v_fma_f32 v11, v19, v56, -v0
	v_pk_fma_f32 v[18:19], v[2:3], v[28:29], v[12:13] op_sel:[0,0,1] op_sel_hi:[1,1,0]
	v_pk_fma_f32 v[2:3], v[2:3], v[28:29], v[12:13] op_sel:[0,0,1] op_sel_hi:[1,0,0] neg_lo:[0,0,1] neg_hi:[0,0,1]
	v_mul_f32_e32 v12, v22, v44
	v_pk_fma_f32 v[32:33], v[46:47], v[48:49], v[32:33] neg_lo:[0,0,1] neg_hi:[0,0,1]
	v_fmac_f32_e32 v8, v20, v54
	v_fmac_f32_e32 v12, v21, v43
	v_mul_f32_e32 v0, v21, v44
	v_pk_mul_f32 v[20:21], v[4:5], v[34:35] op_sel_hi:[1,0]
	v_fma_f32 v13, v22, v43, -v0
	v_pk_fma_f32 v[22:23], v[4:5], v[32:33], v[20:21] op_sel:[0,0,1] op_sel_hi:[1,1,0]
	v_pk_fma_f32 v[4:5], v[4:5], v[32:33], v[20:21] op_sel:[0,0,1] op_sel_hi:[1,0,0] neg_lo:[0,0,1] neg_hi:[0,0,1]
	s_movk_i32 s0, 0x5a
	v_mad_u32_u24 v4, v15, s0, v1
	v_mad_u64_u32 v[0:1], s[0:1], s10, v4, v[16:17]
	v_mov_b32_e32 v1, 0
	v_lshl_add_u64 v[14:15], v[0:1], 3, s[8:9]
	v_add_u32_e32 v0, 18, v4
	global_store_dwordx2 v[14:15], v[6:7], off
	v_mad_u64_u32 v[6:7], s[0:1], s10, v0, v[16:17]
	v_mov_b32_e32 v7, v1
	v_lshl_add_u64 v[6:7], v[6:7], 3, s[8:9]
	v_add_u32_e32 v0, 36, v4
	global_store_dwordx2 v[6:7], v[8:9], off
	;; [unrolled: 5-line block ×3, first 2 shown]
	v_mad_u64_u32 v[6:7], s[0:1], s10, v0, v[16:17]
	v_add_u32_e32 v0, 0x48, v4
	v_mov_b32_e32 v19, v3
	v_mad_u64_u32 v[2:3], s[0:1], s10, v0, v[16:17]
	v_mov_b32_e32 v7, v1
	v_mov_b32_e32 v3, v1
	v_lshl_add_u64 v[6:7], v[6:7], 3, s[8:9]
	v_lshl_add_u64 v[2:3], v[2:3], 3, s[8:9]
	v_add_u32_e32 v0, 0x5a, v4
	global_store_dwordx2 v[6:7], v[18:19], off
	global_store_dwordx2 v[2:3], v[12:13], off
	v_mad_u64_u32 v[2:3], s[0:1], s10, v0, v[16:17]
	v_mov_b32_e32 v3, v1
	v_lshl_add_u64 v[0:1], v[2:3], 3, s[8:9]
	v_mov_b32_e32 v23, v5
	global_store_dwordx2 v[0:1], v[22:23], off
.LBB0_34:
	s_endpgm
	.section	.rodata,"a",@progbits
	.p2align	6, 0x0
	.amdhsa_kernel fft_rtc_back_len108_factors_9_2_6_wgs_252_tpt_12_dim3_sp_ip_CI_sbcc_twdbase8_2step_dirReg_intrinsicReadWrite
		.amdhsa_group_segment_fixed_size 0
		.amdhsa_private_segment_fixed_size 0
		.amdhsa_kernarg_size 88
		.amdhsa_user_sgpr_count 2
		.amdhsa_user_sgpr_dispatch_ptr 0
		.amdhsa_user_sgpr_queue_ptr 0
		.amdhsa_user_sgpr_kernarg_segment_ptr 1
		.amdhsa_user_sgpr_dispatch_id 0
		.amdhsa_user_sgpr_kernarg_preload_length 0
		.amdhsa_user_sgpr_kernarg_preload_offset 0
		.amdhsa_user_sgpr_private_segment_size 0
		.amdhsa_uses_dynamic_stack 0
		.amdhsa_enable_private_segment 0
		.amdhsa_system_sgpr_workgroup_id_x 1
		.amdhsa_system_sgpr_workgroup_id_y 0
		.amdhsa_system_sgpr_workgroup_id_z 0
		.amdhsa_system_sgpr_workgroup_info 0
		.amdhsa_system_vgpr_workitem_id 0
		.amdhsa_next_free_vgpr 118
		.amdhsa_next_free_sgpr 26
		.amdhsa_accum_offset 120
		.amdhsa_reserve_vcc 1
		.amdhsa_float_round_mode_32 0
		.amdhsa_float_round_mode_16_64 0
		.amdhsa_float_denorm_mode_32 3
		.amdhsa_float_denorm_mode_16_64 3
		.amdhsa_dx10_clamp 1
		.amdhsa_ieee_mode 1
		.amdhsa_fp16_overflow 0
		.amdhsa_tg_split 0
		.amdhsa_exception_fp_ieee_invalid_op 0
		.amdhsa_exception_fp_denorm_src 0
		.amdhsa_exception_fp_ieee_div_zero 0
		.amdhsa_exception_fp_ieee_overflow 0
		.amdhsa_exception_fp_ieee_underflow 0
		.amdhsa_exception_fp_ieee_inexact 0
		.amdhsa_exception_int_div_zero 0
	.end_amdhsa_kernel
	.text
.Lfunc_end0:
	.size	fft_rtc_back_len108_factors_9_2_6_wgs_252_tpt_12_dim3_sp_ip_CI_sbcc_twdbase8_2step_dirReg_intrinsicReadWrite, .Lfunc_end0-fft_rtc_back_len108_factors_9_2_6_wgs_252_tpt_12_dim3_sp_ip_CI_sbcc_twdbase8_2step_dirReg_intrinsicReadWrite
                                        ; -- End function
	.section	.AMDGPU.csdata,"",@progbits
; Kernel info:
; codeLenInByte = 5632
; NumSgprs: 32
; NumVgprs: 118
; NumAgprs: 0
; TotalNumVgprs: 118
; ScratchSize: 0
; MemoryBound: 0
; FloatMode: 240
; IeeeMode: 1
; LDSByteSize: 0 bytes/workgroup (compile time only)
; SGPRBlocks: 3
; VGPRBlocks: 14
; NumSGPRsForWavesPerEU: 32
; NumVGPRsForWavesPerEU: 118
; AccumOffset: 120
; Occupancy: 4
; WaveLimiterHint : 1
; COMPUTE_PGM_RSRC2:SCRATCH_EN: 0
; COMPUTE_PGM_RSRC2:USER_SGPR: 2
; COMPUTE_PGM_RSRC2:TRAP_HANDLER: 0
; COMPUTE_PGM_RSRC2:TGID_X_EN: 1
; COMPUTE_PGM_RSRC2:TGID_Y_EN: 0
; COMPUTE_PGM_RSRC2:TGID_Z_EN: 0
; COMPUTE_PGM_RSRC2:TIDIG_COMP_CNT: 0
; COMPUTE_PGM_RSRC3_GFX90A:ACCUM_OFFSET: 29
; COMPUTE_PGM_RSRC3_GFX90A:TG_SPLIT: 0
	.text
	.p2alignl 6, 3212836864
	.fill 256, 4, 3212836864
	.type	__hip_cuid_f840a61ed5e99987,@object ; @__hip_cuid_f840a61ed5e99987
	.section	.bss,"aw",@nobits
	.globl	__hip_cuid_f840a61ed5e99987
__hip_cuid_f840a61ed5e99987:
	.byte	0                               ; 0x0
	.size	__hip_cuid_f840a61ed5e99987, 1

	.ident	"AMD clang version 19.0.0git (https://github.com/RadeonOpenCompute/llvm-project roc-6.4.0 25133 c7fe45cf4b819c5991fe208aaa96edf142730f1d)"
	.section	".note.GNU-stack","",@progbits
	.addrsig
	.addrsig_sym __hip_cuid_f840a61ed5e99987
	.amdgpu_metadata
---
amdhsa.kernels:
  - .agpr_count:     0
    .args:
      - .actual_access:  read_only
        .address_space:  global
        .offset:         0
        .size:           8
        .value_kind:     global_buffer
      - .address_space:  global
        .offset:         8
        .size:           8
        .value_kind:     global_buffer
      - .actual_access:  read_only
        .address_space:  global
        .offset:         16
        .size:           8
        .value_kind:     global_buffer
      - .actual_access:  read_only
        .address_space:  global
        .offset:         24
        .size:           8
        .value_kind:     global_buffer
      - .offset:         32
        .size:           8
        .value_kind:     by_value
      - .actual_access:  read_only
        .address_space:  global
        .offset:         40
        .size:           8
        .value_kind:     global_buffer
      - .actual_access:  read_only
        .address_space:  global
        .offset:         48
        .size:           8
        .value_kind:     global_buffer
      - .offset:         56
        .size:           4
        .value_kind:     by_value
      - .actual_access:  read_only
        .address_space:  global
        .offset:         64
        .size:           8
        .value_kind:     global_buffer
      - .actual_access:  read_only
        .address_space:  global
        .offset:         72
        .size:           8
        .value_kind:     global_buffer
      - .address_space:  global
        .offset:         80
        .size:           8
        .value_kind:     global_buffer
    .group_segment_fixed_size: 0
    .kernarg_segment_align: 8
    .kernarg_segment_size: 88
    .language:       OpenCL C
    .language_version:
      - 2
      - 0
    .max_flat_workgroup_size: 252
    .name:           fft_rtc_back_len108_factors_9_2_6_wgs_252_tpt_12_dim3_sp_ip_CI_sbcc_twdbase8_2step_dirReg_intrinsicReadWrite
    .private_segment_fixed_size: 0
    .sgpr_count:     32
    .sgpr_spill_count: 0
    .symbol:         fft_rtc_back_len108_factors_9_2_6_wgs_252_tpt_12_dim3_sp_ip_CI_sbcc_twdbase8_2step_dirReg_intrinsicReadWrite.kd
    .uniform_work_group_size: 1
    .uses_dynamic_stack: false
    .vgpr_count:     118
    .vgpr_spill_count: 0
    .wavefront_size: 64
amdhsa.target:   amdgcn-amd-amdhsa--gfx950
amdhsa.version:
  - 1
  - 2
...

	.end_amdgpu_metadata
